;; amdgpu-corpus repo=ROCm/rocFFT kind=compiled arch=gfx906 opt=O3
	.text
	.amdgcn_target "amdgcn-amd-amdhsa--gfx906"
	.amdhsa_code_object_version 6
	.protected	bluestein_single_back_len600_dim1_dp_op_CI_CI ; -- Begin function bluestein_single_back_len600_dim1_dp_op_CI_CI
	.globl	bluestein_single_back_len600_dim1_dp_op_CI_CI
	.p2align	8
	.type	bluestein_single_back_len600_dim1_dp_op_CI_CI,@function
bluestein_single_back_len600_dim1_dp_op_CI_CI: ; @bluestein_single_back_len600_dim1_dp_op_CI_CI
; %bb.0:
	s_load_dwordx4 s[16:19], s[4:5], 0x28
	v_mul_u32_u24_e32 v1, 0x445, v0
	v_add_u32_sdwa v164, s6, v1 dst_sel:DWORD dst_unused:UNUSED_PAD src0_sel:DWORD src1_sel:WORD_1
	v_mov_b32_e32 v165, 0
	s_waitcnt lgkmcnt(0)
	v_cmp_gt_u64_e32 vcc, s[16:17], v[164:165]
	s_and_saveexec_b64 s[0:1], vcc
	s_cbranch_execz .LBB0_10
; %bb.1:
	s_load_dwordx4 s[0:3], s[4:5], 0x18
	s_load_dwordx4 s[12:15], s[4:5], 0x0
	v_mov_b32_e32 v2, 60
	v_mul_lo_u16_sdwa v1, v1, v2 dst_sel:DWORD dst_unused:UNUSED_PAD src0_sel:WORD_1 src1_sel:DWORD
	v_sub_u16_e32 v166, v0, v1
	s_waitcnt lgkmcnt(0)
	s_load_dwordx4 s[8:11], s[0:1], 0x0
	v_lshlrev_b32_e32 v165, 4, v166
	s_mov_b32 s21, 0xbfe2cf23
	s_mov_b32 s16, 0x372fe950
	;; [unrolled: 1-line block ×3, first 2 shown]
	s_waitcnt lgkmcnt(0)
	v_mad_u64_u32 v[0:1], s[0:1], s10, v164, 0
	v_mad_u64_u32 v[2:3], s[0:1], s8, v166, 0
	s_mul_i32 s6, s9, 0x3c0
	s_mul_hi_u32 s7, s8, 0x3c0
	v_mad_u64_u32 v[4:5], s[0:1], s11, v164, v[1:2]
	s_add_i32 s6, s7, s6
	s_mul_i32 s7, s8, 0x3c0
	v_mad_u64_u32 v[5:6], s[0:1], s9, v166, v[3:4]
	v_mov_b32_e32 v1, v4
	v_lshlrev_b64 v[0:1], 4, v[0:1]
	v_mov_b32_e32 v6, s19
	v_mov_b32_e32 v3, v5
	v_add_co_u32_e32 v4, vcc, s18, v0
	v_addc_co_u32_e32 v5, vcc, v6, v1, vcc
	v_lshlrev_b64 v[0:1], 4, v[2:3]
	v_mov_b32_e32 v2, s13
	v_add_co_u32_e32 v0, vcc, v4, v0
	v_add_co_u32_e64 v128, s[0:1], s12, v165
	v_addc_co_u32_e32 v1, vcc, v5, v1, vcc
	v_addc_co_u32_e64 v80, vcc, 0, v2, s[0:1]
	v_mov_b32_e32 v3, s6
	v_add_co_u32_e32 v2, vcc, s7, v0
	v_addc_co_u32_e32 v3, vcc, v1, v3, vcc
	global_load_dwordx4 v[40:43], v[0:1], off
	global_load_dwordx4 v[44:47], v[2:3], off
	global_load_dwordx4 v[36:39], v165, s[12:13]
	global_load_dwordx4 v[20:23], v165, s[12:13] offset:960
	v_mov_b32_e32 v1, s6
	v_add_co_u32_e32 v0, vcc, s7, v2
	v_addc_co_u32_e32 v1, vcc, v3, v1, vcc
	v_mov_b32_e32 v3, s6
	v_add_co_u32_e32 v2, vcc, s7, v0
	v_addc_co_u32_e32 v3, vcc, v1, v3, vcc
	global_load_dwordx4 v[48:51], v[0:1], off
	global_load_dwordx4 v[52:55], v[2:3], off
	global_load_dwordx4 v[24:27], v165, s[12:13] offset:1920
	global_load_dwordx4 v[12:15], v165, s[12:13] offset:2880
	v_mov_b32_e32 v1, s6
	v_add_co_u32_e32 v0, vcc, s7, v2
	v_addc_co_u32_e32 v1, vcc, v3, v1, vcc
	global_load_dwordx4 v[56:59], v[0:1], off
	global_load_dwordx4 v[4:7], v165, s[12:13] offset:3840
	v_mov_b32_e32 v2, s6
	v_add_co_u32_e32 v0, vcc, s7, v0
	v_addc_co_u32_e32 v1, vcc, v1, v2, vcc
	s_movk_i32 s8, 0x1000
	v_add_co_u32_e32 v16, vcc, s8, v128
	v_addc_co_u32_e32 v17, vcc, 0, v80, vcc
	global_load_dwordx4 v[60:63], v[0:1], off
	v_add_co_u32_e32 v0, vcc, s7, v0
	v_addc_co_u32_e32 v1, vcc, v1, v2, vcc
	global_load_dwordx4 v[64:67], v[0:1], off
	global_load_dwordx4 v[28:31], v[16:17], off offset:704
	global_load_dwordx4 v[8:11], v[16:17], off offset:1664
	v_add_co_u32_e32 v0, vcc, s7, v0
	v_addc_co_u32_e32 v1, vcc, v1, v2, vcc
	v_add_co_u32_e32 v18, vcc, s7, v0
	v_addc_co_u32_e32 v19, vcc, v1, v2, vcc
	global_load_dwordx4 v[68:71], v[0:1], off
	global_load_dwordx4 v[72:75], v[18:19], off
	global_load_dwordx4 v[32:35], v[16:17], off offset:2624
	s_nop 0
	global_load_dwordx4 v[0:3], v[16:17], off offset:3584
	v_mov_b32_e32 v17, s6
	v_add_co_u32_e32 v16, vcc, s7, v18
	v_addc_co_u32_e32 v17, vcc, v19, v17, vcc
	s_movk_i32 s6, 0x2000
	global_load_dwordx4 v[76:79], v[16:17], off
	v_add_co_u32_e32 v16, vcc, s6, v128
	v_addc_co_u32_e32 v17, vcc, 0, v80, vcc
	global_load_dwordx4 v[16:19], v[16:17], off offset:448
	s_load_dwordx4 s[8:11], s[2:3], 0x0
	s_mov_b32 s6, 0x134454ff
	s_mov_b32 s7, 0x3fee6f0e
	s_mov_b32 s19, 0xbfee6f0e
	s_mov_b32 s18, s6
	s_load_dwordx2 s[2:3], s[4:5], 0x38
	s_mov_b32 s4, 0x4755a5e
	s_mov_b32 s5, 0x3fe2cf23
	;; [unrolled: 1-line block ×5, first 2 shown]
	v_cmp_gt_u16_e32 vcc, 40, v166
                                        ; implicit-def: $vgpr120_vgpr121
                                        ; implicit-def: $vgpr124_vgpr125
	s_waitcnt vmcnt(17)
	v_mul_f64 v[80:81], v[42:43], v[38:39]
	v_mul_f64 v[82:83], v[40:41], v[38:39]
	s_waitcnt vmcnt(16)
	v_mul_f64 v[84:85], v[46:47], v[22:23]
	v_mul_f64 v[86:87], v[44:45], v[22:23]
	v_fma_f64 v[40:41], v[40:41], v[36:37], v[80:81]
	v_fma_f64 v[42:43], v[42:43], v[36:37], -v[82:83]
	v_fma_f64 v[44:45], v[44:45], v[20:21], v[84:85]
	v_fma_f64 v[46:47], v[46:47], v[20:21], -v[86:87]
	ds_write_b128 v165, v[40:43]
	ds_write_b128 v165, v[44:47] offset:960
	s_waitcnt vmcnt(13)
	v_mul_f64 v[40:41], v[50:51], v[26:27]
	v_mul_f64 v[42:43], v[48:49], v[26:27]
	s_waitcnt vmcnt(10)
	v_mul_f64 v[80:81], v[58:59], v[6:7]
	v_mul_f64 v[82:83], v[56:57], v[6:7]
	;; [unrolled: 1-line block ×4, first 2 shown]
	v_fma_f64 v[40:41], v[48:49], v[24:25], v[40:41]
	v_fma_f64 v[42:43], v[50:51], v[24:25], -v[42:43]
	v_fma_f64 v[48:49], v[56:57], v[4:5], v[80:81]
	v_fma_f64 v[50:51], v[58:59], v[4:5], -v[82:83]
	;; [unrolled: 2-line block ×3, first 2 shown]
	s_waitcnt vmcnt(7)
	v_mul_f64 v[84:85], v[62:63], v[30:31]
	v_mul_f64 v[86:87], v[60:61], v[30:31]
	s_waitcnt vmcnt(6)
	v_mul_f64 v[56:57], v[66:67], v[10:11]
	v_mul_f64 v[58:59], v[64:65], v[10:11]
	v_fma_f64 v[52:53], v[60:61], v[28:29], v[84:85]
	v_fma_f64 v[54:55], v[62:63], v[28:29], -v[86:87]
	s_waitcnt vmcnt(3)
	v_mul_f64 v[60:61], v[70:71], v[34:35]
	v_mul_f64 v[62:63], v[68:69], v[34:35]
	s_waitcnt vmcnt(2)
	v_mul_f64 v[80:81], v[74:75], v[2:3]
	v_mul_f64 v[82:83], v[72:73], v[2:3]
	v_fma_f64 v[56:57], v[64:65], v[8:9], v[56:57]
	v_fma_f64 v[58:59], v[66:67], v[8:9], -v[58:59]
	v_fma_f64 v[60:61], v[68:69], v[32:33], v[60:61]
	v_fma_f64 v[62:63], v[70:71], v[32:33], -v[62:63]
	;; [unrolled: 2-line block ×3, first 2 shown]
	s_waitcnt vmcnt(0)
	v_mul_f64 v[84:85], v[78:79], v[18:19]
	v_mul_f64 v[86:87], v[76:77], v[18:19]
	v_fma_f64 v[68:69], v[76:77], v[16:17], v[84:85]
	v_fma_f64 v[70:71], v[78:79], v[16:17], -v[86:87]
	ds_write_b128 v165, v[40:43] offset:1920
	ds_write_b128 v165, v[44:47] offset:2880
	;; [unrolled: 1-line block ×8, first 2 shown]
	s_waitcnt lgkmcnt(0)
	; wave barrier
	s_waitcnt lgkmcnt(0)
	ds_read_b128 v[40:43], v165
	ds_read_b128 v[44:47], v165 offset:960
	ds_read_b128 v[48:51], v165 offset:1920
	;; [unrolled: 1-line block ×6, first 2 shown]
	s_waitcnt lgkmcnt(4)
	v_add_f64 v[76:77], v[40:41], v[48:49]
	ds_read_b128 v[68:71], v165 offset:6720
	ds_read_b128 v[72:75], v165 offset:7680
	s_waitcnt lgkmcnt(4)
	v_add_f64 v[80:81], v[52:53], v[56:57]
	v_add_f64 v[90:91], v[48:49], -v[52:53]
	v_add_f64 v[88:89], v[54:55], -v[58:59]
	v_add_f64 v[96:97], v[42:43], v[50:51]
	s_waitcnt lgkmcnt(0)
	v_add_f64 v[92:93], v[72:73], -v[56:57]
	v_add_f64 v[82:83], v[76:77], v[52:53]
	v_add_f64 v[94:95], v[48:49], v[72:73]
	v_add_f64 v[84:85], v[50:51], -v[74:75]
	v_fma_f64 v[80:81], v[80:81], -0.5, v[40:41]
	v_add_f64 v[98:99], v[48:49], -v[72:73]
	v_add_f64 v[48:49], v[52:53], -v[48:49]
	;; [unrolled: 1-line block ×3, first 2 shown]
	v_add_f64 v[90:91], v[90:91], v[92:93]
	v_add_f64 v[82:83], v[82:83], v[56:57]
	v_fma_f64 v[40:41], v[94:95], -0.5, v[40:41]
	v_add_f64 v[92:93], v[54:55], v[58:59]
	v_fma_f64 v[86:87], v[84:85], s[6:7], v[80:81]
	v_fma_f64 v[80:81], v[84:85], s[18:19], v[80:81]
	v_add_f64 v[100:101], v[74:75], -v[58:59]
	ds_read_b128 v[76:79], v165 offset:8640
	s_waitcnt lgkmcnt(0)
	v_add_f64 v[82:83], v[82:83], v[72:73]
	v_fma_f64 v[94:95], v[88:89], s[18:19], v[40:41]
	v_fma_f64 v[92:93], v[92:93], -0.5, v[42:43]
	v_add_f64 v[72:73], v[56:57], -v[72:73]
	v_fma_f64 v[40:41], v[88:89], s[6:7], v[40:41]
	v_fma_f64 v[86:87], v[88:89], s[4:5], v[86:87]
	;; [unrolled: 1-line block ×3, first 2 shown]
	v_add_f64 v[88:89], v[96:97], v[54:55]
	v_add_f64 v[56:57], v[50:51], -v[54:55]
	v_fma_f64 v[94:95], v[84:85], s[4:5], v[94:95]
	v_fma_f64 v[96:97], v[98:99], s[18:19], v[92:93]
	v_add_f64 v[48:49], v[48:49], v[72:73]
	v_add_f64 v[72:73], v[50:51], v[74:75]
	v_fma_f64 v[40:41], v[84:85], s[20:21], v[40:41]
	v_fma_f64 v[86:87], v[90:91], s[16:17], v[86:87]
	v_add_f64 v[84:85], v[88:89], v[58:59]
	v_fma_f64 v[90:91], v[90:91], s[16:17], v[80:81]
	v_add_f64 v[80:81], v[64:65], v[68:69]
	;; [unrolled: 2-line block ×3, first 2 shown]
	v_fma_f64 v[42:43], v[72:73], -0.5, v[42:43]
	v_fma_f64 v[72:73], v[48:49], s[16:17], v[40:41]
	v_add_f64 v[40:41], v[44:45], v[60:61]
	v_fma_f64 v[94:95], v[48:49], s[16:17], v[94:95]
	v_add_f64 v[84:85], v[84:85], v[74:75]
	v_fma_f64 v[48:49], v[80:81], -0.5, v[44:45]
	v_add_f64 v[80:81], v[62:63], -v[78:79]
	v_fma_f64 v[100:101], v[56:57], s[16:17], v[88:89]
	v_fma_f64 v[88:89], v[98:99], s[6:7], v[92:93]
	;; [unrolled: 1-line block ×3, first 2 shown]
	v_add_f64 v[40:41], v[40:41], v[64:65]
	v_add_f64 v[50:51], v[54:55], -v[50:51]
	v_add_f64 v[54:55], v[58:59], -v[74:75]
	v_fma_f64 v[42:43], v[52:53], s[18:19], v[42:43]
	v_fma_f64 v[58:59], v[80:81], s[6:7], v[48:49]
	v_add_f64 v[74:75], v[66:67], -v[70:71]
	v_add_f64 v[96:97], v[60:61], -v[64:65]
	;; [unrolled: 1-line block ×3, first 2 shown]
	v_fma_f64 v[52:53], v[52:53], s[4:5], v[88:89]
	v_add_f64 v[88:89], v[60:61], v[76:77]
	v_add_f64 v[40:41], v[40:41], v[68:69]
	v_fma_f64 v[92:93], v[98:99], s[20:21], v[92:93]
	v_add_f64 v[50:51], v[50:51], v[54:55]
	v_fma_f64 v[42:43], v[98:99], s[4:5], v[42:43]
	v_fma_f64 v[54:55], v[74:75], s[4:5], v[58:59]
	v_add_f64 v[58:59], v[96:97], v[102:103]
	v_fma_f64 v[98:99], v[56:57], s[16:17], v[52:53]
	v_fma_f64 v[44:45], v[88:89], -0.5, v[44:45]
	v_add_f64 v[52:53], v[66:67], v[70:71]
	v_add_f64 v[88:89], v[40:41], v[76:77]
	v_add_f64 v[40:41], v[62:63], v[78:79]
	v_fma_f64 v[48:49], v[80:81], s[18:19], v[48:49]
	v_fma_f64 v[104:105], v[50:51], s[16:17], v[42:43]
	;; [unrolled: 1-line block ×3, first 2 shown]
	v_add_f64 v[54:55], v[60:61], -v[76:77]
	v_add_f64 v[56:57], v[64:65], -v[60:61]
	v_fma_f64 v[52:53], v[52:53], -0.5, v[46:47]
	v_add_f64 v[60:61], v[68:69], -v[76:77]
	v_add_f64 v[64:65], v[64:65], -v[68:69]
	v_fma_f64 v[40:41], v[40:41], -0.5, v[46:47]
	v_fma_f64 v[102:103], v[50:51], s[16:17], v[92:93]
	v_fma_f64 v[50:51], v[74:75], s[18:19], v[44:45]
	;; [unrolled: 1-line block ×3, first 2 shown]
	v_add_f64 v[46:47], v[46:47], v[62:63]
	v_fma_f64 v[48:49], v[74:75], s[20:21], v[48:49]
	v_fma_f64 v[68:69], v[54:55], s[18:19], v[52:53]
	v_add_f64 v[74:75], v[62:63], -v[66:67]
	v_add_f64 v[76:77], v[78:79], -v[70:71]
	v_add_f64 v[56:57], v[56:57], v[60:61]
	v_fma_f64 v[60:61], v[64:65], s[6:7], v[40:41]
	v_add_f64 v[62:63], v[66:67], -v[62:63]
	v_add_f64 v[92:93], v[70:71], -v[78:79]
	v_fma_f64 v[50:51], v[80:81], s[4:5], v[50:51]
	v_fma_f64 v[44:45], v[80:81], s[20:21], v[44:45]
	v_add_f64 v[46:47], v[46:47], v[66:67]
	v_fma_f64 v[52:53], v[54:55], s[6:7], v[52:53]
	v_fma_f64 v[40:41], v[64:65], s[18:19], v[40:41]
	v_fma_f64 v[66:67], v[64:65], s[20:21], v[68:69]
	v_add_f64 v[68:69], v[74:75], v[76:77]
	v_fma_f64 v[60:61], v[54:55], s[20:21], v[60:61]
	v_add_f64 v[62:63], v[62:63], v[92:93]
	v_fma_f64 v[50:51], v[56:57], s[16:17], v[50:51]
	v_fma_f64 v[56:57], v[56:57], s[16:17], v[44:45]
	v_add_f64 v[44:45], v[46:47], v[70:71]
	v_fma_f64 v[46:47], v[64:65], s[4:5], v[52:53]
	v_fma_f64 v[40:41], v[54:55], s[4:5], v[40:41]
	;; [unrolled: 1-line block ×5, first 2 shown]
	v_mul_f64 v[58:59], v[42:43], s[22:23]
	v_mul_f64 v[42:43], v[42:43], s[20:21]
	v_add_f64 v[64:65], v[44:45], v[78:79]
	v_fma_f64 v[44:45], v[68:69], s[16:17], v[46:47]
	v_fma_f64 v[46:47], v[62:63], s[16:17], v[40:41]
	v_mul_f64 v[62:63], v[56:57], s[16:17]
	v_mul_f64 v[66:67], v[48:49], s[22:23]
	;; [unrolled: 1-line block ×3, first 2 shown]
	v_fma_f64 v[68:69], v[52:53], s[4:5], v[58:59]
	v_mul_f64 v[58:59], v[50:51], s[18:19]
	v_fma_f64 v[78:79], v[52:53], s[22:23], v[42:43]
	v_mul_f64 v[74:75], v[44:45], s[22:23]
	v_mul_f64 v[70:71], v[46:47], s[16:17]
	v_fma_f64 v[62:63], v[46:47], s[6:7], -v[62:63]
	v_fma_f64 v[66:67], v[44:45], s[4:5], -v[66:67]
	v_fma_f64 v[76:77], v[50:51], s[16:17], v[60:61]
	v_add_f64 v[40:41], v[82:83], v[88:89]
	v_fma_f64 v[106:107], v[54:55], s[16:17], v[58:59]
	v_add_f64 v[42:43], v[84:85], v[64:65]
	v_fma_f64 v[74:75], v[48:49], s[20:21], -v[74:75]
	v_fma_f64 v[70:71], v[56:57], s[18:19], -v[70:71]
	v_add_f64 v[44:45], v[86:87], v[68:69]
	v_add_f64 v[46:47], v[100:101], v[78:79]
	v_add_f64 v[48:49], v[94:95], v[76:77]
	v_add_f64 v[52:53], v[72:73], v[62:63]
	v_add_f64 v[50:51], v[102:103], v[106:107]
	v_add_f64 v[56:57], v[90:91], v[66:67]
	v_add_f64 v[58:59], v[98:99], v[74:75]
	v_add_f64 v[54:55], v[104:105], v[70:71]
	v_add_f64 v[60:61], v[82:83], -v[88:89]
	v_add_f64 v[92:93], v[72:73], -v[62:63]
	;; [unrolled: 1-line block ×5, first 2 shown]
	v_mul_lo_u16_e32 v64, 10, v166
	v_add_f64 v[88:89], v[94:95], -v[76:77]
	v_add_f64 v[96:97], v[90:91], -v[66:67]
	;; [unrolled: 1-line block ×3, first 2 shown]
	v_lshlrev_b32_e32 v140, 4, v64
	v_add_f64 v[94:95], v[104:105], -v[70:71]
	v_add_f64 v[98:99], v[98:99], -v[74:75]
	; wave barrier
	ds_write_b128 v140, v[40:43]
	ds_write_b128 v140, v[44:47] offset:16
	ds_write_b128 v140, v[48:51] offset:32
	;; [unrolled: 1-line block ×9, first 2 shown]
	s_waitcnt lgkmcnt(0)
	; wave barrier
	s_waitcnt lgkmcnt(0)
	ds_read_b128 v[84:87], v165
	ds_read_b128 v[116:119], v165 offset:1600
	ds_read_b128 v[112:115], v165 offset:3200
	;; [unrolled: 1-line block ×5, first 2 shown]
	s_and_saveexec_b64 s[4:5], vcc
	s_cbranch_execz .LBB0_3
; %bb.2:
	ds_read_b128 v[80:83], v165 offset:960
	ds_read_b128 v[88:91], v165 offset:2560
	;; [unrolled: 1-line block ×6, first 2 shown]
.LBB0_3:
	s_or_b64 exec, exec, s[4:5]
	s_movk_i32 s6, 0xcd
	v_mul_lo_u16_sdwa v40, v166, s6 dst_sel:DWORD dst_unused:UNUSED_PAD src0_sel:BYTE_0 src1_sel:DWORD
	v_lshrrev_b16_e32 v139, 11, v40
	v_add_u16_e32 v42, 60, v166
	v_mul_lo_u16_e32 v40, 10, v139
	v_mul_lo_u16_sdwa v43, v42, s6 dst_sel:DWORD dst_unused:UNUSED_PAD src0_sel:BYTE_0 src1_sel:DWORD
	v_sub_u16_e32 v40, v166, v40
	v_lshrrev_b16_e32 v176, 11, v43
	v_and_b32_e32 v163, 0xff, v40
	v_mov_b32_e32 v41, s15
	v_mul_lo_u16_e32 v43, 10, v176
	s_movk_i32 s7, 0x50
	v_mov_b32_e32 v40, s14
	v_sub_u16_e32 v42, v42, v43
	v_mad_u64_u32 v[44:45], s[4:5], v163, s7, v[40:41]
	v_and_b32_e32 v167, 0xff, v42
	v_mad_u64_u32 v[56:57], s[4:5], v167, s7, v[40:41]
	global_load_dwordx4 v[68:71], v[44:45], off offset:48
	global_load_dwordx4 v[64:67], v[44:45], off offset:32
	;; [unrolled: 1-line block ×3, first 2 shown]
	global_load_dwordx4 v[60:63], v[44:45], off
	global_load_dwordx4 v[76:79], v[44:45], off offset:64
	global_load_dwordx4 v[40:43], v[56:57], off
                                        ; kill: killed $vgpr44_vgpr45
	global_load_dwordx4 v[52:55], v[56:57], off offset:16
	global_load_dwordx4 v[48:51], v[56:57], off offset:32
	s_nop 0
	global_load_dwordx4 v[44:47], v[56:57], off offset:48
	s_nop 0
	global_load_dwordx4 v[56:59], v[56:57], off offset:64
	s_mov_b32 s4, 0xe8584caa
	s_mov_b32 s5, 0x3febb67a
	;; [unrolled: 1-line block ×4, first 2 shown]
	s_waitcnt lgkmcnt(0)
	; wave barrier
	s_waitcnt vmcnt(5) lgkmcnt(0)
	v_mul_f64 v[147:148], v[102:103], v[78:79]
	v_mul_f64 v[149:150], v[100:101], v[78:79]
	;; [unrolled: 1-line block ×10, first 2 shown]
	s_waitcnt vmcnt(4)
	v_mul_f64 v[153:154], v[88:89], v[42:43]
	s_waitcnt vmcnt(3)
	v_mul_f64 v[155:156], v[94:95], v[54:55]
	v_mul_f64 v[157:158], v[92:93], v[54:55]
	s_waitcnt vmcnt(2)
	v_mul_f64 v[159:160], v[98:99], v[50:51]
	;; [unrolled: 3-line block ×3, first 2 shown]
	s_waitcnt vmcnt(0)
	v_mul_f64 v[172:173], v[126:127], v[58:59]
	v_mul_f64 v[174:175], v[124:125], v[58:59]
	;; [unrolled: 1-line block ×4, first 2 shown]
	v_fma_f64 v[116:117], v[116:117], v[60:61], -v[129:130]
	v_fma_f64 v[118:119], v[118:119], v[60:61], v[131:132]
	v_fma_f64 v[112:113], v[112:113], v[72:73], -v[133:134]
	v_fma_f64 v[114:115], v[114:115], v[72:73], v[135:136]
	;; [unrolled: 2-line block ×5, first 2 shown]
	v_fma_f64 v[102:103], v[90:91], v[40:41], v[153:154]
	v_fma_f64 v[92:93], v[92:93], v[52:53], -v[155:156]
	v_fma_f64 v[104:105], v[94:95], v[52:53], v[157:158]
	v_fma_f64 v[94:95], v[96:97], v[48:49], -v[159:160]
	v_fma_f64 v[106:107], v[98:99], v[48:49], v[161:162]
	v_fma_f64 v[90:91], v[120:121], v[44:45], -v[168:169]
	v_fma_f64 v[96:97], v[124:125], v[56:57], -v[172:173]
	v_fma_f64 v[100:101], v[126:127], v[56:57], v[174:175]
	v_fma_f64 v[88:89], v[88:89], v[40:41], -v[151:152]
	v_fma_f64 v[98:99], v[122:123], v[44:45], v[170:171]
	v_add_f64 v[120:121], v[84:85], v[112:113]
	v_add_f64 v[122:123], v[112:113], v[129:130]
	v_add_f64 v[124:125], v[114:115], -v[131:132]
	v_add_f64 v[126:127], v[86:87], v[114:115]
	v_add_f64 v[114:115], v[114:115], v[131:132]
	;; [unrolled: 1-line block ×4, first 2 shown]
	v_add_f64 v[143:144], v[110:111], -v[135:136]
	v_add_f64 v[145:146], v[118:119], v[110:111]
	v_add_f64 v[110:111], v[110:111], v[135:136]
	;; [unrolled: 1-line block ×5, first 2 shown]
	v_add_f64 v[112:113], v[112:113], -v[129:130]
	v_add_f64 v[108:109], v[108:109], -v[133:134]
	;; [unrolled: 1-line block ×3, first 2 shown]
	v_add_f64 v[151:152], v[104:105], v[98:99]
	v_add_f64 v[157:158], v[106:107], -v[100:101]
	v_add_f64 v[161:162], v[94:95], -v[96:97]
	v_fma_f64 v[84:85], v[122:123], -0.5, v[84:85]
	v_fma_f64 v[86:87], v[114:115], -0.5, v[86:87]
	v_add_f64 v[114:115], v[120:121], v[129:130]
	v_add_f64 v[120:121], v[126:127], v[131:132]
	;; [unrolled: 1-line block ×3, first 2 shown]
	v_fma_f64 v[116:117], v[141:142], -0.5, v[116:117]
	v_add_f64 v[126:127], v[145:146], v[135:136]
	v_fma_f64 v[110:111], v[110:111], -0.5, v[118:119]
	v_fma_f64 v[118:119], v[147:148], -0.5, v[80:81]
	;; [unrolled: 1-line block ×4, first 2 shown]
	v_add_f64 v[153:154], v[92:93], -v[90:91]
	v_fma_f64 v[137:138], v[151:152], -0.5, v[82:83]
	v_fma_f64 v[151:152], v[124:125], s[4:5], v[84:85]
	v_fma_f64 v[155:156], v[124:125], s[6:7], v[84:85]
	;; [unrolled: 1-line block ×8, first 2 shown]
	v_add_f64 v[129:130], v[114:115], v[122:123]
	v_add_f64 v[131:132], v[120:121], v[126:127]
	v_add_f64 v[133:134], v[114:115], -v[122:123]
	v_add_f64 v[135:136], v[120:121], -v[126:127]
	v_fma_f64 v[84:85], v[149:150], s[4:5], v[118:119]
	v_fma_f64 v[86:87], v[149:150], s[6:7], v[118:119]
	;; [unrolled: 1-line block ×8, first 2 shown]
	v_mul_f64 v[126:127], v[124:125], s[4:5]
	v_mul_f64 v[137:138], v[116:117], -0.5
	v_mul_f64 v[141:142], v[112:113], s[6:7]
	v_mul_f64 v[145:146], v[143:144], -0.5
	;; [unrolled: 2-line block ×4, first 2 shown]
	v_fma_f64 v[161:162], v[112:113], 0.5, v[126:127]
	v_fma_f64 v[137:138], v[143:144], s[4:5], v[137:138]
	v_fma_f64 v[170:171], v[124:125], 0.5, v[141:142]
	v_fma_f64 v[116:117], v[116:117], s[6:7], v[145:146]
	;; [unrolled: 2-line block ×4, first 2 shown]
	v_add_f64 v[141:142], v[151:152], v[161:162]
	v_add_f64 v[145:146], v[155:156], v[137:138]
	v_add_f64 v[153:154], v[155:156], -v[137:138]
	v_add_f64 v[147:148], v[168:169], v[116:117]
	v_add_f64 v[155:156], v[168:169], -v[116:117]
	v_add_f64 v[116:117], v[84:85], -v[112:113]
	;; [unrolled: 1-line block ×5, first 2 shown]
	v_add_f64 v[143:144], v[159:160], v[170:171]
	v_add_f64 v[149:150], v[151:152], -v[161:162]
	v_add_f64 v[151:152], v[159:160], -v[170:171]
	v_mul_u32_u24_e32 v137, 60, v139
	v_add_lshl_u32 v169, v137, v163, 4
	v_mul_u32_u24_e32 v168, 60, v176
	ds_write_b128 v169, v[129:132]
	ds_write_b128 v169, v[141:144] offset:160
	ds_write_b128 v169, v[145:148] offset:320
	ds_write_b128 v169, v[133:136] offset:480
	ds_write_b128 v169, v[149:152] offset:640
	ds_write_b128 v169, v[153:156] offset:800
	s_and_saveexec_b64 s[4:5], vcc
	s_cbranch_execz .LBB0_5
; %bb.4:
	v_add_f64 v[82:83], v[82:83], v[104:105]
	v_add_f64 v[102:103], v[102:103], v[106:107]
	;; [unrolled: 1-line block ×12, first 2 shown]
	v_add_lshl_u32 v84, v168, v167, 4
	v_add_f64 v[92:93], v[94:95], -v[98:99]
	v_add_f64 v[96:97], v[94:95], v[98:99]
	v_add_f64 v[94:95], v[90:91], v[100:101]
	v_add_f64 v[90:91], v[90:91], -v[100:101]
	ds_write_b128 v84, v[116:119] offset:640
	ds_write_b128 v84, v[86:89] offset:160
	;; [unrolled: 1-line block ×3, first 2 shown]
	ds_write_b128 v84, v[94:97]
	ds_write_b128 v84, v[90:93] offset:480
	ds_write_b128 v84, v[120:123] offset:800
.LBB0_5:
	s_or_b64 exec, exec, s[4:5]
	v_mov_b32_e32 v81, s15
	s_movk_i32 s4, 0x90
	v_mov_b32_e32 v80, s14
	v_mad_u64_u32 v[112:113], s[4:5], v166, s4, v[80:81]
	s_waitcnt lgkmcnt(0)
	; wave barrier
	s_waitcnt lgkmcnt(0)
	global_load_dwordx4 v[96:99], v[112:113], off offset:800
	global_load_dwordx4 v[88:91], v[112:113], off offset:816
	;; [unrolled: 1-line block ×8, first 2 shown]
	s_nop 0
	global_load_dwordx4 v[112:115], v[112:113], off offset:928
	ds_read_b128 v[129:132], v165
	ds_read_b128 v[133:136], v165 offset:960
	ds_read_b128 v[141:144], v165 offset:1920
	;; [unrolled: 1-line block ×9, first 2 shown]
	s_mov_b32 s4, 0x134454ff
	s_mov_b32 s5, 0x3fee6f0e
	;; [unrolled: 1-line block ×8, first 2 shown]
	v_mov_b32_e32 v124, s13
	s_mov_b32 s12, 0x372fe950
	s_mov_b32 s13, 0x3fd3c6ef
	;; [unrolled: 1-line block ×8, first 2 shown]
	v_addc_co_u32_e64 v124, s[0:1], 0, v124, s[0:1]
	s_movk_i32 s0, 0x2000
	s_movk_i32 s24, 0x2580
	s_waitcnt vmcnt(8) lgkmcnt(8)
	v_mul_f64 v[125:126], v[135:136], v[98:99]
	v_mul_f64 v[137:138], v[133:134], v[98:99]
	s_waitcnt vmcnt(7) lgkmcnt(7)
	v_mul_f64 v[161:162], v[143:144], v[90:91]
	v_mul_f64 v[182:183], v[141:142], v[90:91]
	;; [unrolled: 3-line block ×6, first 2 shown]
	s_waitcnt vmcnt(2) lgkmcnt(2)
	v_mul_f64 v[200:201], v[172:173], v[94:95]
	s_waitcnt vmcnt(1) lgkmcnt(1)
	v_mul_f64 v[204:205], v[176:177], v[106:107]
	v_mul_f64 v[202:203], v[170:171], v[94:95]
	;; [unrolled: 1-line block ×3, first 2 shown]
	s_waitcnt vmcnt(0) lgkmcnt(0)
	v_mul_f64 v[208:209], v[180:181], v[114:115]
	v_fma_f64 v[125:126], v[133:134], v[96:97], -v[125:126]
	v_fma_f64 v[133:134], v[135:136], v[96:97], v[137:138]
	v_fma_f64 v[135:136], v[141:142], v[88:89], -v[161:162]
	v_fma_f64 v[137:138], v[143:144], v[88:89], v[182:183]
	v_fma_f64 v[141:142], v[145:146], v[84:85], -v[184:185]
	v_fma_f64 v[143:144], v[147:148], v[84:85], v[186:187]
	v_fma_f64 v[145:146], v[149:150], v[80:81], -v[188:189]
	v_fma_f64 v[147:148], v[151:152], v[80:81], v[190:191]
	v_fma_f64 v[149:150], v[153:154], v[108:109], -v[192:193]
	v_fma_f64 v[151:152], v[155:156], v[108:109], v[194:195]
	v_fma_f64 v[153:154], v[157:158], v[100:101], -v[196:197]
	v_fma_f64 v[155:156], v[159:160], v[100:101], v[198:199]
	v_fma_f64 v[159:160], v[170:171], v[92:93], -v[200:201]
	v_fma_f64 v[170:171], v[174:175], v[104:105], -v[204:205]
	v_mul_f64 v[210:211], v[178:179], v[114:115]
	v_fma_f64 v[157:158], v[176:177], v[104:105], v[206:207]
	v_fma_f64 v[161:162], v[172:173], v[92:93], v[202:203]
	v_fma_f64 v[172:173], v[178:179], v[112:113], -v[208:209]
	v_add_f64 v[176:177], v[129:130], v[135:136]
	v_add_f64 v[178:179], v[145:146], v[153:154]
	v_add_f64 v[182:183], v[147:148], -v[155:156]
	v_add_f64 v[188:189], v[135:136], v[170:171]
	v_fma_f64 v[174:175], v[180:181], v[112:113], v[210:211]
	v_add_f64 v[180:181], v[137:138], -v[157:158]
	v_add_f64 v[184:185], v[135:136], -v[145:146]
	v_add_f64 v[186:187], v[170:171], -v[153:154]
	v_add_f64 v[190:191], v[145:146], -v[135:136]
	v_add_f64 v[194:195], v[131:132], v[137:138]
	v_add_f64 v[196:197], v[147:148], v[155:156]
	v_add_f64 v[198:199], v[145:146], -v[153:154]
	v_add_f64 v[204:205], v[137:138], v[157:158]
	v_add_f64 v[145:146], v[176:177], v[145:146]
	v_fma_f64 v[176:177], v[178:179], -0.5, v[129:130]
	v_fma_f64 v[129:130], v[188:189], -0.5, v[129:130]
	v_add_f64 v[192:193], v[153:154], -v[170:171]
	v_add_f64 v[200:201], v[137:138], -v[147:148]
	;; [unrolled: 1-line block ×3, first 2 shown]
	v_add_f64 v[178:179], v[184:185], v[186:187]
	v_add_f64 v[147:148], v[194:195], v[147:148]
	v_fma_f64 v[186:187], v[196:197], -0.5, v[131:132]
	v_fma_f64 v[131:132], v[204:205], -0.5, v[131:132]
	v_add_f64 v[145:146], v[145:146], v[153:154]
	v_fma_f64 v[153:154], v[180:181], s[4:5], v[176:177]
	v_fma_f64 v[176:177], v[180:181], s[16:17], v[176:177]
	;; [unrolled: 1-line block ×4, first 2 shown]
	v_add_f64 v[135:136], v[135:136], -v[170:171]
	v_add_f64 v[208:209], v[125:126], v[141:142]
	v_add_f64 v[184:185], v[190:191], v[192:193]
	;; [unrolled: 1-line block ×3, first 2 shown]
	v_fma_f64 v[196:197], v[198:199], s[4:5], v[131:132]
	v_fma_f64 v[131:132], v[198:199], s[16:17], v[131:132]
	v_add_f64 v[170:171], v[145:146], v[170:171]
	v_fma_f64 v[145:146], v[182:183], s[6:7], v[153:154]
	v_fma_f64 v[153:154], v[182:183], s[14:15], v[176:177]
	v_fma_f64 v[176:177], v[180:181], s[6:7], v[194:195]
	v_fma_f64 v[129:130], v[180:181], s[14:15], v[129:130]
	v_add_f64 v[202:203], v[157:158], -v[155:156]
	v_add_f64 v[206:207], v[155:156], -v[157:158]
	v_add_f64 v[210:211], v[149:150], v[159:160]
	v_add_f64 v[190:191], v[208:209], v[149:150]
	v_fma_f64 v[155:156], v[135:136], s[16:17], v[186:187]
	v_fma_f64 v[186:187], v[135:136], s[4:5], v[186:187]
	v_add_f64 v[180:181], v[147:148], v[157:158]
	v_fma_f64 v[157:158], v[135:136], s[14:15], v[196:197]
	v_fma_f64 v[131:132], v[135:136], s[6:7], v[131:132]
	v_fma_f64 v[176:177], v[184:185], s[12:13], v[176:177]
	v_fma_f64 v[184:185], v[184:185], s[12:13], v[129:130]
	v_add_f64 v[129:130], v[141:142], -v[149:150]
	v_add_f64 v[135:136], v[172:173], -v[159:160]
	;; [unrolled: 1-line block ×3, first 2 shown]
	v_add_f64 v[188:189], v[200:201], v[202:203]
	v_add_f64 v[137:138], v[137:138], v[206:207]
	v_fma_f64 v[192:193], v[210:211], -0.5, v[125:126]
	v_fma_f64 v[147:148], v[198:199], s[14:15], v[155:156]
	v_fma_f64 v[155:156], v[198:199], s[6:7], v[186:187]
	;; [unrolled: 1-line block ×3, first 2 shown]
	v_add_f64 v[145:146], v[190:191], v[159:160]
	v_add_f64 v[129:130], v[129:130], v[135:136]
	;; [unrolled: 1-line block ×4, first 2 shown]
	v_fma_f64 v[200:201], v[212:213], s[4:5], v[192:193]
	v_fma_f64 v[178:179], v[178:179], s[12:13], v[153:154]
	;; [unrolled: 1-line block ×5, first 2 shown]
	v_add_f64 v[153:154], v[145:146], v[172:173]
	v_fma_f64 v[145:146], v[212:213], s[16:17], v[192:193]
	v_add_f64 v[155:156], v[143:144], v[174:175]
	v_add_f64 v[157:158], v[149:150], -v[141:142]
	v_add_f64 v[192:193], v[159:160], -v[172:173]
	v_fma_f64 v[135:136], v[135:136], -0.5, v[133:134]
	v_add_f64 v[141:142], v[141:142], -v[172:173]
	v_add_f64 v[149:150], v[149:150], -v[159:160]
	v_add_f64 v[172:173], v[143:144], -v[151:152]
	v_add_f64 v[214:215], v[151:152], -v[161:162]
	v_fma_f64 v[155:156], v[155:156], -0.5, v[133:134]
	v_add_f64 v[133:134], v[133:134], v[143:144]
	v_add_f64 v[157:158], v[157:158], v[192:193]
	v_add_f64 v[192:193], v[174:175], -v[161:162]
	v_fma_f64 v[159:160], v[141:142], s[16:17], v[135:136]
	v_fma_f64 v[125:126], v[216:217], -0.5, v[125:126]
	v_add_f64 v[143:144], v[151:152], -v[143:144]
	v_add_f64 v[196:197], v[161:162], -v[174:175]
	v_fma_f64 v[194:195], v[149:150], s[4:5], v[155:156]
	v_add_f64 v[133:134], v[133:134], v[151:152]
	v_fma_f64 v[135:136], v[141:142], s[4:5], v[135:136]
	v_fma_f64 v[151:152], v[149:150], s[16:17], v[155:156]
	;; [unrolled: 1-line block ×3, first 2 shown]
	v_add_f64 v[159:160], v[172:173], v[192:193]
	v_fma_f64 v[147:148], v[214:215], s[16:17], v[125:126]
	v_fma_f64 v[125:126], v[214:215], s[4:5], v[125:126]
	v_fma_f64 v[137:138], v[137:138], s[12:13], v[131:132]
	v_fma_f64 v[131:132], v[214:215], s[6:7], v[200:201]
	v_fma_f64 v[172:173], v[141:142], s[14:15], v[194:195]
	v_add_f64 v[143:144], v[143:144], v[196:197]
	v_add_f64 v[133:134], v[133:134], v[161:162]
	v_fma_f64 v[135:136], v[149:150], s[6:7], v[135:136]
	v_fma_f64 v[141:142], v[141:142], s[6:7], v[151:152]
	;; [unrolled: 1-line block ×7, first 2 shown]
	v_add_f64 v[155:156], v[133:134], v[174:175]
	v_fma_f64 v[133:134], v[159:160], s[12:13], v[135:136]
	v_fma_f64 v[135:136], v[143:144], s[12:13], v[141:142]
	v_mul_f64 v[141:142], v[149:150], s[6:7]
	v_fma_f64 v[147:148], v[157:158], s[12:13], v[147:148]
	v_fma_f64 v[151:152], v[143:144], s[12:13], v[172:173]
	;; [unrolled: 1-line block ×4, first 2 shown]
	v_add_f64 v[129:130], v[170:171], v[153:154]
	v_mul_f64 v[174:175], v[133:134], s[22:23]
	v_mul_f64 v[172:173], v[135:136], s[20:21]
	v_fma_f64 v[161:162], v[131:132], s[18:19], v[141:142]
	v_mul_f64 v[131:132], v[131:132], s[14:15]
	v_mul_f64 v[143:144], v[151:152], s[4:5]
	;; [unrolled: 1-line block ×5, first 2 shown]
	v_fma_f64 v[200:201], v[145:146], s[14:15], v[174:175]
	v_fma_f64 v[125:126], v[125:126], s[16:17], v[172:173]
	v_add_f64 v[153:154], v[170:171], -v[153:154]
	v_fma_f64 v[196:197], v[149:150], s[18:19], v[131:132]
	v_fma_f64 v[192:193], v[147:148], s[12:13], v[143:144]
	;; [unrolled: 1-line block ×5, first 2 shown]
	v_add_f64 v[131:132], v[180:181], v[155:156]
	v_add_f64 v[133:134], v[182:183], v[161:162]
	;; [unrolled: 1-line block ×9, first 2 shown]
	v_add_f64 v[155:156], v[180:181], -v[155:156]
	v_add_f64 v[157:158], v[182:183], -v[161:162]
	;; [unrolled: 1-line block ×6, first 2 shown]
	v_add_co_u32_e64 v125, s[0:1], s0, v128
	v_add_f64 v[172:173], v[190:191], -v[198:199]
	v_addc_co_u32_e64 v126, s[0:1], 0, v124, s[0:1]
	v_add_f64 v[174:175], v[184:185], -v[194:195]
	v_add_f64 v[180:181], v[188:189], -v[200:201]
	ds_write_b128 v165, v[129:132]
	ds_write_b128 v165, v[133:136] offset:960
	ds_write_b128 v165, v[141:144] offset:1920
	;; [unrolled: 1-line block ×9, first 2 shown]
	s_waitcnt lgkmcnt(0)
	; wave barrier
	s_waitcnt lgkmcnt(0)
	global_load_dwordx4 v[129:132], v[125:126], off offset:1408
	v_add_co_u32_e64 v125, s[0:1], s24, v128
	v_addc_co_u32_e64 v126, s[0:1], 0, v124, s[0:1]
	global_load_dwordx4 v[133:136], v[125:126], off offset:960
	global_load_dwordx4 v[141:144], v[125:126], off offset:1920
	;; [unrolled: 1-line block ×4, first 2 shown]
	s_movk_i32 s0, 0x3000
	v_add_co_u32_e64 v125, s[0:1], s0, v128
	v_addc_co_u32_e64 v126, s[0:1], 0, v124, s[0:1]
	global_load_dwordx4 v[153:156], v[125:126], off offset:2112
	global_load_dwordx4 v[157:160], v[125:126], off offset:3072
	;; [unrolled: 1-line block ×3, first 2 shown]
	s_movk_i32 s0, 0x4000
	v_add_co_u32_e64 v137, s[0:1], s0, v128
	v_addc_co_u32_e64 v138, s[0:1], 0, v124, s[0:1]
	global_load_dwordx4 v[124:127], v[137:138], off offset:896
	global_load_dwordx4 v[174:177], v[137:138], off offset:1856
	ds_read_b128 v[178:181], v165
	ds_read_b128 v[182:185], v165 offset:960
	s_waitcnt vmcnt(9) lgkmcnt(1)
	v_mul_f64 v[137:138], v[180:181], v[131:132]
	v_mul_f64 v[131:132], v[178:179], v[131:132]
	s_waitcnt vmcnt(8) lgkmcnt(0)
	v_mul_f64 v[161:162], v[184:185], v[135:136]
	v_mul_f64 v[186:187], v[182:183], v[135:136]
	v_fma_f64 v[135:136], v[178:179], v[129:130], -v[137:138]
	v_fma_f64 v[137:138], v[180:181], v[129:130], v[131:132]
	v_fma_f64 v[128:129], v[182:183], v[133:134], -v[161:162]
	v_fma_f64 v[130:131], v[184:185], v[133:134], v[186:187]
	ds_read_b128 v[178:181], v165 offset:1920
	ds_write_b128 v165, v[135:138]
	ds_read_b128 v[132:135], v165 offset:2880
	s_waitcnt vmcnt(7) lgkmcnt(2)
	v_mul_f64 v[161:162], v[180:181], v[143:144]
	ds_write_b128 v165, v[128:131] offset:960
	ds_read_b128 v[128:131], v165 offset:3840
	ds_read_b128 v[136:139], v165 offset:4800
	v_mul_f64 v[143:144], v[178:179], v[143:144]
	s_waitcnt vmcnt(6) lgkmcnt(3)
	v_mul_f64 v[182:183], v[134:135], v[147:148]
	v_mul_f64 v[147:148], v[132:133], v[147:148]
	s_waitcnt vmcnt(5) lgkmcnt(1)
	v_mul_f64 v[184:185], v[130:131], v[151:152]
	v_mul_f64 v[151:152], v[128:129], v[151:152]
	v_fma_f64 v[178:179], v[178:179], v[141:142], -v[161:162]
	s_waitcnt vmcnt(4) lgkmcnt(0)
	v_mul_f64 v[161:162], v[138:139], v[155:156]
	v_mul_f64 v[155:156], v[136:137], v[155:156]
	v_fma_f64 v[180:181], v[180:181], v[141:142], v[143:144]
	ds_read_b128 v[141:144], v165 offset:5760
	v_fma_f64 v[132:133], v[132:133], v[145:146], -v[182:183]
	v_fma_f64 v[134:135], v[134:135], v[145:146], v[147:148]
	ds_read_b128 v[145:148], v165 offset:6720
	v_fma_f64 v[128:129], v[128:129], v[149:150], -v[184:185]
	;; [unrolled: 3-line block ×3, first 2 shown]
	v_fma_f64 v[138:139], v[138:139], v[153:154], v[155:156]
	ds_read_b128 v[153:156], v165 offset:8640
	s_waitcnt vmcnt(3) lgkmcnt(3)
	v_mul_f64 v[161:162], v[143:144], v[159:160]
	v_mul_f64 v[159:160], v[141:142], v[159:160]
	s_waitcnt vmcnt(2) lgkmcnt(2)
	v_mul_f64 v[182:183], v[147:148], v[172:173]
	v_mul_f64 v[172:173], v[145:146], v[172:173]
	;; [unrolled: 3-line block ×4, first 2 shown]
	v_fma_f64 v[141:142], v[141:142], v[157:158], -v[161:162]
	v_fma_f64 v[143:144], v[143:144], v[157:158], v[159:160]
	v_fma_f64 v[145:146], v[145:146], v[170:171], -v[182:183]
	v_fma_f64 v[147:148], v[147:148], v[170:171], v[172:173]
	;; [unrolled: 2-line block ×4, first 2 shown]
	ds_write_b128 v165, v[178:181] offset:1920
	ds_write_b128 v165, v[132:135] offset:2880
	;; [unrolled: 1-line block ×8, first 2 shown]
	s_waitcnt lgkmcnt(0)
	; wave barrier
	s_waitcnt lgkmcnt(0)
	ds_read_b128 v[124:127], v165 offset:5760
	ds_read_b128 v[128:131], v165 offset:3840
	;; [unrolled: 1-line block ×5, first 2 shown]
	ds_read_b128 v[145:148], v165
	ds_read_b128 v[149:152], v165 offset:960
	ds_read_b128 v[153:156], v165 offset:7680
	;; [unrolled: 1-line block ×4, first 2 shown]
	s_waitcnt lgkmcnt(4)
	v_add_f64 v[174:175], v[145:146], v[141:142]
	v_add_f64 v[161:162], v[128:129], v[124:125]
	s_waitcnt lgkmcnt(2)
	v_add_f64 v[176:177], v[143:144], -v[155:156]
	v_add_f64 v[178:179], v[141:142], v[153:154]
	v_add_f64 v[182:183], v[130:131], -v[126:127]
	v_add_f64 v[184:185], v[141:142], -v[128:129]
	;; [unrolled: 1-line block ×4, first 2 shown]
	v_add_f64 v[174:175], v[174:175], v[128:129]
	v_fma_f64 v[161:162], v[161:162], -0.5, v[145:146]
	v_add_f64 v[190:191], v[124:125], -v[153:154]
	v_fma_f64 v[145:146], v[178:179], -0.5, v[145:146]
	v_add_f64 v[178:179], v[130:131], v[126:127]
	v_add_f64 v[192:193], v[147:148], v[143:144]
	v_add_f64 v[184:185], v[184:185], v[186:187]
	v_add_f64 v[141:142], v[141:142], -v[153:154]
	v_add_f64 v[174:175], v[174:175], v[124:125]
	v_fma_f64 v[180:181], v[176:177], s[16:17], v[161:162]
	v_fma_f64 v[161:162], v[176:177], s[4:5], v[161:162]
	;; [unrolled: 1-line block ×3, first 2 shown]
	v_fma_f64 v[178:179], v[178:179], -0.5, v[147:148]
	v_fma_f64 v[145:146], v[182:183], s[16:17], v[145:146]
	v_add_f64 v[124:125], v[128:129], -v[124:125]
	v_add_f64 v[128:129], v[143:144], -v[130:131]
	v_add_f64 v[174:175], v[174:175], v[153:154]
	v_fma_f64 v[180:181], v[182:183], s[14:15], v[180:181]
	v_fma_f64 v[161:162], v[182:183], s[6:7], v[161:162]
	v_fma_f64 v[153:154], v[176:177], s[14:15], v[186:187]
	v_add_f64 v[182:183], v[192:193], v[130:131]
	v_fma_f64 v[186:187], v[141:142], s[4:5], v[178:179]
	v_fma_f64 v[178:179], v[141:142], s[16:17], v[178:179]
	;; [unrolled: 1-line block ×3, first 2 shown]
	v_add_f64 v[130:131], v[130:131], -v[143:144]
	v_fma_f64 v[180:181], v[184:185], s[12:13], v[180:181]
	v_fma_f64 v[161:162], v[184:185], s[12:13], v[161:162]
	v_add_f64 v[184:185], v[188:189], v[190:191]
	v_add_f64 v[188:189], v[155:156], -v[126:127]
	v_add_f64 v[190:191], v[143:144], v[155:156]
	v_add_f64 v[176:177], v[182:183], v[126:127]
	v_fma_f64 v[186:187], v[124:125], s[6:7], v[186:187]
	v_fma_f64 v[178:179], v[124:125], s[14:15], v[178:179]
	v_add_f64 v[126:127], v[126:127], -v[155:156]
	s_waitcnt lgkmcnt(0)
	v_add_f64 v[192:193], v[170:171], -v[136:137]
	v_fma_f64 v[182:183], v[184:185], s[12:13], v[153:154]
	v_add_f64 v[153:154], v[132:133], v[136:137]
	v_add_f64 v[128:129], v[128:129], v[188:189]
	v_fma_f64 v[147:148], v[190:191], -0.5, v[147:148]
	v_fma_f64 v[184:185], v[184:185], s[12:13], v[145:146]
	v_add_f64 v[145:146], v[149:150], v[157:158]
	v_add_f64 v[188:189], v[159:160], -v[172:173]
	v_add_f64 v[176:177], v[176:177], v[155:156]
	v_add_f64 v[155:156], v[157:158], v[170:171]
	v_fma_f64 v[153:154], v[153:154], -0.5, v[149:150]
	v_fma_f64 v[186:187], v[128:129], s[12:13], v[186:187]
	v_fma_f64 v[178:179], v[128:129], s[12:13], v[178:179]
	;; [unrolled: 1-line block ×4, first 2 shown]
	v_add_f64 v[143:144], v[145:146], v[132:133]
	v_add_f64 v[147:148], v[134:135], -v[138:139]
	v_add_f64 v[190:191], v[157:158], -v[132:133]
	v_fma_f64 v[145:146], v[188:189], s[16:17], v[153:154]
	v_add_f64 v[194:195], v[134:135], v[138:139]
	v_add_f64 v[126:127], v[130:131], v[126:127]
	v_fma_f64 v[128:129], v[141:142], s[6:7], v[128:129]
	v_fma_f64 v[124:125], v[141:142], s[14:15], v[124:125]
	v_add_f64 v[130:131], v[143:144], v[136:137]
	v_fma_f64 v[141:142], v[155:156], -0.5, v[149:150]
	v_add_f64 v[155:156], v[157:158], -v[170:171]
	v_fma_f64 v[143:144], v[147:148], s[14:15], v[145:146]
	v_add_f64 v[145:146], v[190:191], v[192:193]
	v_fma_f64 v[149:150], v[194:195], -0.5, v[151:152]
	v_fma_f64 v[190:191], v[126:127], s[12:13], v[128:129]
	v_add_f64 v[128:129], v[159:160], v[172:173]
	v_fma_f64 v[194:195], v[126:127], s[12:13], v[124:125]
	v_add_f64 v[124:125], v[130:131], v[170:171]
	v_add_f64 v[196:197], v[172:173], -v[138:139]
	v_fma_f64 v[153:154], v[188:189], s[4:5], v[153:154]
	v_fma_f64 v[126:127], v[145:146], s[12:13], v[143:144]
	;; [unrolled: 1-line block ×3, first 2 shown]
	v_add_f64 v[143:144], v[132:133], -v[136:137]
	v_fma_f64 v[128:129], v[128:129], -0.5, v[151:152]
	v_add_f64 v[132:133], v[132:133], -v[157:158]
	v_add_f64 v[157:158], v[159:160], -v[134:135]
	v_add_f64 v[151:152], v[151:152], v[159:160]
	v_add_f64 v[159:160], v[134:135], -v[159:160]
	v_add_f64 v[200:201], v[138:139], -v[172:173]
	v_fma_f64 v[149:150], v[155:156], s[16:17], v[149:150]
	v_fma_f64 v[130:131], v[143:144], s[6:7], v[130:131]
	;; [unrolled: 1-line block ×4, first 2 shown]
	v_add_f64 v[157:158], v[157:158], v[196:197]
	v_fma_f64 v[192:193], v[147:148], s[4:5], v[141:142]
	v_fma_f64 v[153:154], v[147:148], s[6:7], v[153:154]
	;; [unrolled: 1-line block ×3, first 2 shown]
	v_add_f64 v[134:135], v[151:152], v[134:135]
	v_add_f64 v[151:152], v[159:160], v[200:201]
	v_fma_f64 v[147:148], v[155:156], s[6:7], v[198:199]
	v_add_f64 v[136:137], v[136:137], -v[170:171]
	v_fma_f64 v[130:131], v[157:158], s[12:13], v[130:131]
	v_fma_f64 v[128:129], v[155:156], s[14:15], v[128:129]
	;; [unrolled: 1-line block ×4, first 2 shown]
	v_add_f64 v[134:135], v[134:135], v[138:139]
	v_fma_f64 v[138:139], v[145:146], s[12:13], v[153:154]
	v_fma_f64 v[145:146], v[151:152], s[12:13], v[147:148]
	v_add_f64 v[132:133], v[132:133], v[136:137]
	v_mul_f64 v[147:148], v[130:131], s[14:15]
	v_fma_f64 v[136:137], v[188:189], s[6:7], v[141:142]
	v_fma_f64 v[128:129], v[151:152], s[12:13], v[128:129]
	v_fma_f64 v[143:144], v[157:158], s[12:13], v[143:144]
	v_add_f64 v[134:135], v[134:135], v[172:173]
	v_add_f64 v[141:142], v[174:175], v[124:125]
	v_add_f64 v[170:171], v[174:175], -v[124:125]
	v_fma_f64 v[149:150], v[132:133], s[12:13], v[192:193]
	v_fma_f64 v[172:173], v[126:127], s[18:19], v[147:148]
	v_mul_f64 v[126:127], v[126:127], s[6:7]
	v_fma_f64 v[132:133], v[132:133], s[12:13], v[136:137]
	v_mul_f64 v[136:137], v[145:146], s[16:17]
	v_mul_f64 v[147:148], v[145:146], s[12:13]
	;; [unrolled: 1-line block ×6, first 2 shown]
	v_fma_f64 v[126:127], v[130:131], s[18:19], v[126:127]
	v_add_f64 v[145:146], v[180:181], v[172:173]
	v_fma_f64 v[136:137], v[149:150], s[12:13], v[136:137]
	v_fma_f64 v[130:131], v[149:150], s[4:5], v[147:148]
	;; [unrolled: 1-line block ×6, first 2 shown]
	v_add_f64 v[143:144], v[176:177], v[134:135]
	v_add_f64 v[147:148], v[186:187], v[126:127]
	;; [unrolled: 1-line block ×8, first 2 shown]
	v_add_f64 v[124:125], v[180:181], -v[172:173]
	v_add_f64 v[172:173], v[176:177], -v[134:135]
	;; [unrolled: 1-line block ×9, first 2 shown]
	s_waitcnt lgkmcnt(0)
	; wave barrier
	ds_write_b128 v140, v[141:144]
	ds_write_b128 v140, v[145:148] offset:16
	ds_write_b128 v140, v[149:152] offset:32
	;; [unrolled: 1-line block ×9, first 2 shown]
	s_waitcnt lgkmcnt(0)
	; wave barrier
	s_waitcnt lgkmcnt(0)
	ds_read_b128 v[140:143], v165
	ds_read_b128 v[144:147], v165 offset:1600
	ds_read_b128 v[156:159], v165 offset:3200
	;; [unrolled: 1-line block ×5, first 2 shown]
	s_and_saveexec_b64 s[0:1], vcc
	s_cbranch_execz .LBB0_7
; %bb.6:
	ds_read_b128 v[124:127], v165 offset:960
	ds_read_b128 v[128:131], v165 offset:2560
	;; [unrolled: 1-line block ×6, first 2 shown]
.LBB0_7:
	s_or_b64 exec, exec, s[0:1]
	s_waitcnt lgkmcnt(3)
	v_mul_f64 v[170:171], v[74:75], v[158:159]
	s_waitcnt lgkmcnt(1)
	v_mul_f64 v[172:173], v[70:71], v[162:163]
	v_mul_f64 v[74:75], v[74:75], v[156:157]
	;; [unrolled: 1-line block ×4, first 2 shown]
	s_waitcnt lgkmcnt(0)
	v_mul_f64 v[176:177], v[78:79], v[152:153]
	v_mul_f64 v[66:67], v[66:67], v[150:151]
	v_mul_f64 v[78:79], v[78:79], v[154:155]
	v_fma_f64 v[156:157], v[72:73], v[156:157], v[170:171]
	v_fma_f64 v[160:161], v[68:69], v[160:161], v[172:173]
	v_mul_f64 v[170:171], v[62:63], v[144:145]
	v_fma_f64 v[72:73], v[72:73], v[158:159], -v[74:75]
	v_fma_f64 v[74:75], v[64:65], v[150:151], -v[174:175]
	v_fma_f64 v[68:69], v[68:69], v[162:163], -v[70:71]
	v_fma_f64 v[70:71], v[76:77], v[154:155], -v[176:177]
	v_mul_f64 v[62:63], v[62:63], v[146:147]
	v_fma_f64 v[64:65], v[64:65], v[148:149], v[66:67]
	v_add_f64 v[150:151], v[156:157], v[160:161]
	v_fma_f64 v[146:147], v[60:61], v[146:147], -v[170:171]
	v_fma_f64 v[66:67], v[76:77], v[152:153], v[78:79]
	v_add_f64 v[76:77], v[140:141], v[156:157]
	v_add_f64 v[78:79], v[72:73], -v[68:69]
	v_add_f64 v[148:149], v[74:75], v[70:71]
	v_fma_f64 v[60:61], v[60:61], v[144:145], v[62:63]
	s_mov_b32 s0, 0xe8584caa
	v_fma_f64 v[140:141], v[150:151], -0.5, v[140:141]
	s_mov_b32 s1, 0xbfebb67a
	v_add_f64 v[62:63], v[64:65], v[66:67]
	v_add_f64 v[144:145], v[64:65], -v[66:67]
	s_mov_b32 s5, 0x3febb67a
	v_fma_f64 v[148:149], v[148:149], -0.5, v[146:147]
	v_add_f64 v[152:153], v[142:143], v[72:73]
	v_add_f64 v[72:73], v[72:73], v[68:69]
	s_mov_b32 s4, s0
	v_fma_f64 v[150:151], v[78:79], s[0:1], v[140:141]
	v_fma_f64 v[62:63], v[62:63], -0.5, v[60:61]
	v_add_f64 v[154:155], v[74:75], -v[70:71]
	v_fma_f64 v[78:79], v[78:79], s[4:5], v[140:141]
	v_fma_f64 v[140:141], v[144:145], s[4:5], v[148:149]
	;; [unrolled: 1-line block ×3, first 2 shown]
	v_add_f64 v[148:149], v[152:153], v[68:69]
	v_fma_f64 v[68:69], v[72:73], -0.5, v[142:143]
	v_add_f64 v[72:73], v[156:157], -v[160:161]
	v_add_f64 v[60:61], v[60:61], v[64:65]
	v_add_f64 v[74:75], v[146:147], v[74:75]
	v_fma_f64 v[64:65], v[154:155], s[0:1], v[62:63]
	v_mul_f64 v[142:143], v[140:141], s[0:1]
	v_mul_f64 v[140:141], v[140:141], 0.5
	v_fma_f64 v[62:63], v[154:155], s[4:5], v[62:63]
	v_mul_f64 v[152:153], v[144:145], s[0:1]
	v_mul_f64 v[144:145], v[144:145], -0.5
	v_add_f64 v[76:77], v[76:77], v[160:161]
	v_fma_f64 v[146:147], v[72:73], s[4:5], v[68:69]
	v_fma_f64 v[154:155], v[72:73], s[0:1], v[68:69]
	v_add_f64 v[72:73], v[60:61], v[66:67]
	v_add_f64 v[74:75], v[74:75], v[70:71]
	v_fma_f64 v[142:143], v[64:65], 0.5, v[142:143]
	v_fma_f64 v[156:157], v[64:65], s[4:5], v[140:141]
	v_fma_f64 v[152:153], v[62:63], -0.5, v[152:153]
	v_fma_f64 v[144:145], v[62:63], s[4:5], v[144:145]
	s_waitcnt lgkmcnt(0)
	; wave barrier
	v_add_f64 v[60:61], v[76:77], v[72:73]
	v_add_f64 v[62:63], v[148:149], v[74:75]
	;; [unrolled: 1-line block ×6, first 2 shown]
	v_add_f64 v[72:73], v[76:77], -v[72:73]
	v_add_f64 v[74:75], v[148:149], -v[74:75]
	;; [unrolled: 1-line block ×6, first 2 shown]
	ds_write_b128 v169, v[60:63]
	ds_write_b128 v169, v[64:67] offset:160
	ds_write_b128 v169, v[68:71] offset:320
	;; [unrolled: 1-line block ×5, first 2 shown]
	s_and_saveexec_b64 s[6:7], vcc
	s_cbranch_execz .LBB0_9
; %bb.8:
	v_mul_f64 v[62:63], v[50:51], v[136:137]
	v_mul_f64 v[64:65], v[58:59], v[120:121]
	;; [unrolled: 1-line block ×8, first 2 shown]
	v_fma_f64 v[62:63], v[48:49], v[138:139], -v[62:63]
	v_fma_f64 v[64:65], v[56:57], v[122:123], -v[64:65]
	;; [unrolled: 1-line block ×3, first 2 shown]
	v_mul_f64 v[46:47], v[46:47], v[118:119]
	v_fma_f64 v[52:53], v[52:53], v[132:133], v[54:55]
	v_mul_f64 v[42:43], v[42:43], v[130:131]
	v_fma_f64 v[48:49], v[48:49], v[136:137], v[50:51]
	v_fma_f64 v[50:51], v[56:57], v[120:121], v[58:59]
	v_fma_f64 v[54:55], v[40:41], v[130:131], -v[68:69]
	v_add_f64 v[56:57], v[62:63], v[64:65]
	v_fma_f64 v[66:67], v[44:45], v[118:119], -v[66:67]
	v_fma_f64 v[44:45], v[44:45], v[116:117], v[46:47]
	v_add_f64 v[70:71], v[62:63], -v[64:65]
	v_fma_f64 v[40:41], v[40:41], v[128:129], v[42:43]
	v_add_f64 v[72:73], v[126:127], v[60:61]
	v_add_f64 v[46:47], v[48:49], v[50:51]
	v_add_f64 v[58:59], v[48:49], -v[50:51]
	v_fma_f64 v[56:57], v[56:57], -0.5, v[54:55]
	v_add_f64 v[42:43], v[60:61], v[66:67]
	v_add_f64 v[54:55], v[54:55], v[62:63]
	;; [unrolled: 1-line block ×3, first 2 shown]
	v_add_f64 v[68:69], v[52:53], -v[44:45]
	v_add_f64 v[60:61], v[60:61], -v[66:67]
	v_fma_f64 v[46:47], v[46:47], -0.5, v[40:41]
	v_add_f64 v[52:53], v[124:125], v[52:53]
	v_fma_f64 v[74:75], v[58:59], s[0:1], v[56:57]
	v_fma_f64 v[56:57], v[58:59], s[4:5], v[56:57]
	v_fma_f64 v[42:43], v[42:43], -0.5, v[126:127]
	v_add_f64 v[40:41], v[40:41], v[48:49]
	v_add_f64 v[48:49], v[72:73], v[66:67]
	;; [unrolled: 1-line block ×3, first 2 shown]
	v_fma_f64 v[58:59], v[70:71], s[4:5], v[46:47]
	v_fma_f64 v[46:47], v[70:71], s[0:1], v[46:47]
	v_mul_f64 v[66:67], v[74:75], -0.5
	v_mul_f64 v[70:71], v[56:57], 0.5
	v_fma_f64 v[54:55], v[62:63], -0.5, v[124:125]
	v_mul_f64 v[56:57], v[56:57], s[0:1]
	v_fma_f64 v[62:63], v[68:69], s[0:1], v[42:43]
	v_fma_f64 v[68:69], v[68:69], s[4:5], v[42:43]
	v_mul_f64 v[42:43], v[74:75], s[0:1]
	v_add_f64 v[44:45], v[52:53], v[44:45]
	v_fma_f64 v[66:67], v[58:59], s[4:5], v[66:67]
	v_add_f64 v[40:41], v[40:41], v[50:51]
	v_fma_f64 v[70:71], v[46:47], s[4:5], v[70:71]
	v_fma_f64 v[74:75], v[60:61], s[0:1], v[54:55]
	v_fma_f64 v[78:79], v[46:47], 0.5, v[56:57]
	v_fma_f64 v[72:73], v[60:61], s[4:5], v[54:55]
	v_fma_f64 v[76:77], v[58:59], -0.5, v[42:43]
	v_add_f64 v[50:51], v[48:49], -v[64:65]
	v_add_f64 v[42:43], v[62:63], -v[66:67]
	v_add_f64 v[54:55], v[62:63], v[66:67]
	v_add_f64 v[62:63], v[48:49], v[64:65]
	;; [unrolled: 1-line block ×6, first 2 shown]
	v_add_f64 v[48:49], v[44:45], -v[40:41]
	v_add_f64 v[46:47], v[68:69], -v[70:71]
	v_add_f64 v[44:45], v[74:75], -v[78:79]
	v_add_f64 v[40:41], v[72:73], -v[76:77]
	v_add_lshl_u32 v64, v168, v167, 4
	ds_write_b128 v64, v[60:63]
	ds_write_b128 v64, v[56:59] offset:160
	ds_write_b128 v64, v[52:55] offset:320
	;; [unrolled: 1-line block ×5, first 2 shown]
.LBB0_9:
	s_or_b64 exec, exec, s[6:7]
	s_waitcnt lgkmcnt(0)
	; wave barrier
	s_waitcnt lgkmcnt(0)
	ds_read_b128 v[40:43], v165
	ds_read_b128 v[44:47], v165 offset:960
	ds_read_b128 v[48:51], v165 offset:1920
	;; [unrolled: 1-line block ×5, first 2 shown]
	s_waitcnt lgkmcnt(4)
	v_mul_f64 v[116:117], v[98:99], v[46:47]
	v_mul_f64 v[98:99], v[98:99], v[44:45]
	s_waitcnt lgkmcnt(3)
	v_mul_f64 v[118:119], v[90:91], v[50:51]
	v_mul_f64 v[90:91], v[90:91], v[48:49]
	ds_read_b128 v[64:67], v165 offset:5760
	ds_read_b128 v[68:71], v165 offset:6720
	;; [unrolled: 1-line block ×4, first 2 shown]
	s_mov_b32 s4, 0x134454ff
	s_mov_b32 s5, 0xbfee6f0e
	v_fma_f64 v[44:45], v[96:97], v[44:45], v[116:117]
	v_fma_f64 v[46:47], v[96:97], v[46:47], -v[98:99]
	s_waitcnt lgkmcnt(6)
	v_mul_f64 v[96:97], v[86:87], v[54:55]
	v_mul_f64 v[86:87], v[86:87], v[52:53]
	v_fma_f64 v[48:49], v[88:89], v[48:49], v[118:119]
	s_waitcnt lgkmcnt(5)
	v_mul_f64 v[98:99], v[82:83], v[58:59]
	v_fma_f64 v[50:51], v[88:89], v[50:51], -v[90:91]
	v_mul_f64 v[82:83], v[82:83], v[56:57]
	s_waitcnt lgkmcnt(4)
	v_mul_f64 v[88:89], v[110:111], v[62:63]
	s_waitcnt lgkmcnt(3)
	v_mul_f64 v[90:91], v[102:103], v[66:67]
	v_fma_f64 v[52:53], v[84:85], v[52:53], v[96:97]
	v_fma_f64 v[54:55], v[84:85], v[54:55], -v[86:87]
	v_mul_f64 v[84:85], v[110:111], v[60:61]
	v_fma_f64 v[56:57], v[80:81], v[56:57], v[98:99]
	v_add_f64 v[86:87], v[40:41], v[48:49]
	v_fma_f64 v[58:59], v[80:81], v[58:59], -v[82:83]
	v_fma_f64 v[60:61], v[108:109], v[60:61], v[88:89]
	v_fma_f64 v[80:81], v[100:101], v[64:65], v[90:91]
	s_waitcnt lgkmcnt(1)
	v_mul_f64 v[82:83], v[106:107], v[72:73]
	v_mul_f64 v[88:89], v[106:107], v[74:75]
	v_fma_f64 v[62:63], v[108:109], v[62:63], -v[84:85]
	v_mul_f64 v[64:65], v[102:103], v[64:65]
	v_add_f64 v[84:85], v[86:87], v[56:57]
	v_mul_f64 v[86:87], v[94:95], v[70:71]
	v_mul_f64 v[90:91], v[94:95], v[68:69]
	v_add_f64 v[94:95], v[56:57], v[80:81]
	v_fma_f64 v[74:75], v[104:105], v[74:75], -v[82:83]
	v_fma_f64 v[72:73], v[104:105], v[72:73], v[88:89]
	s_waitcnt lgkmcnt(0)
	v_mul_f64 v[82:83], v[114:115], v[78:79]
	v_mul_f64 v[88:89], v[114:115], v[76:77]
	v_add_f64 v[84:85], v[84:85], v[80:81]
	v_fma_f64 v[64:65], v[100:101], v[66:67], -v[64:65]
	v_fma_f64 v[66:67], v[92:93], v[68:69], v[86:87]
	v_fma_f64 v[68:69], v[94:95], -0.5, v[40:41]
	v_add_f64 v[86:87], v[50:51], -v[74:75]
	s_mov_b32 s1, 0x3fee6f0e
	v_fma_f64 v[76:77], v[112:113], v[76:77], v[82:83]
	s_mov_b32 s0, s4
	v_add_f64 v[82:83], v[84:85], v[72:73]
	v_add_f64 v[84:85], v[48:49], v[72:73]
	v_fma_f64 v[70:71], v[92:93], v[70:71], -v[90:91]
	v_fma_f64 v[78:79], v[112:113], v[78:79], -v[88:89]
	v_fma_f64 v[88:89], v[86:87], s[4:5], v[68:69]
	v_add_f64 v[90:91], v[58:59], -v[64:65]
	v_add_f64 v[92:93], v[48:49], -v[56:57]
	v_add_f64 v[94:95], v[72:73], -v[80:81]
	v_fma_f64 v[68:69], v[86:87], s[0:1], v[68:69]
	v_fma_f64 v[40:41], v[84:85], -0.5, v[40:41]
	s_mov_b32 s14, 0x4755a5e
	s_mov_b32 s15, 0xbfe2cf23
	;; [unrolled: 1-line block ×4, first 2 shown]
	v_fma_f64 v[84:85], v[90:91], s[14:15], v[88:89]
	v_add_f64 v[88:89], v[92:93], v[94:95]
	v_add_f64 v[92:93], v[58:59], v[64:65]
	v_fma_f64 v[68:69], v[90:91], s[6:7], v[68:69]
	v_fma_f64 v[94:95], v[90:91], s[0:1], v[40:41]
	v_add_f64 v[96:97], v[56:57], -v[48:49]
	v_add_f64 v[98:99], v[80:81], -v[72:73]
	v_add_f64 v[100:101], v[42:43], v[50:51]
	v_fma_f64 v[40:41], v[90:91], s[4:5], v[40:41]
	v_add_f64 v[48:49], v[48:49], -v[72:73]
	v_fma_f64 v[92:93], v[92:93], -0.5, v[42:43]
	v_fma_f64 v[72:73], v[88:89], s[12:13], v[84:85]
	v_fma_f64 v[84:85], v[88:89], s[12:13], v[68:69]
	;; [unrolled: 1-line block ×3, first 2 shown]
	v_add_f64 v[88:89], v[96:97], v[98:99]
	v_add_f64 v[90:91], v[100:101], v[58:59]
	v_fma_f64 v[40:41], v[86:87], s[6:7], v[40:41]
	v_add_f64 v[56:57], v[56:57], -v[80:81]
	v_fma_f64 v[94:95], v[48:49], s[0:1], v[92:93]
	v_add_f64 v[80:81], v[50:51], -v[58:59]
	v_add_f64 v[96:97], v[74:75], -v[64:65]
	v_fma_f64 v[92:93], v[48:49], s[4:5], v[92:93]
	v_add_f64 v[98:99], v[50:51], v[74:75]
	v_add_f64 v[86:87], v[90:91], v[64:65]
	v_fma_f64 v[68:69], v[88:89], s[12:13], v[68:69]
	v_add_f64 v[90:91], v[60:61], v[66:67]
	v_fma_f64 v[88:89], v[88:89], s[12:13], v[40:41]
	;; [unrolled: 2-line block ×4, first 2 shown]
	v_fma_f64 v[42:43], v[98:99], -0.5, v[42:43]
	v_add_f64 v[96:97], v[54:55], -v[78:79]
	v_fma_f64 v[90:91], v[90:91], -0.5, v[44:45]
	v_add_f64 v[86:87], v[86:87], v[74:75]
	v_add_f64 v[40:41], v[40:41], v[60:61]
	v_add_f64 v[50:51], v[58:59], -v[50:51]
	v_fma_f64 v[94:95], v[80:81], s[12:13], v[94:95]
	v_fma_f64 v[80:81], v[80:81], s[12:13], v[92:93]
	;; [unrolled: 1-line block ×3, first 2 shown]
	v_add_f64 v[58:59], v[64:65], -v[74:75]
	v_fma_f64 v[42:43], v[56:57], s[0:1], v[42:43]
	v_fma_f64 v[56:57], v[96:97], s[4:5], v[90:91]
	v_add_f64 v[64:65], v[62:63], -v[70:71]
	v_add_f64 v[74:75], v[52:53], -v[60:61]
	v_add_f64 v[98:99], v[76:77], -v[66:67]
	v_add_f64 v[100:101], v[52:53], v[76:77]
	v_add_f64 v[102:103], v[62:63], v[70:71]
	;; [unrolled: 1-line block ×3, first 2 shown]
	v_fma_f64 v[92:93], v[48:49], s[6:7], v[92:93]
	v_add_f64 v[50:51], v[50:51], v[58:59]
	v_fma_f64 v[42:43], v[48:49], s[14:15], v[42:43]
	v_fma_f64 v[48:49], v[64:65], s[14:15], v[56:57]
	v_add_f64 v[56:57], v[74:75], v[98:99]
	v_fma_f64 v[44:45], v[100:101], -0.5, v[44:45]
	v_fma_f64 v[58:59], v[96:97], s[0:1], v[90:91]
	v_fma_f64 v[74:75], v[102:103], -0.5, v[46:47]
	v_add_f64 v[90:91], v[52:53], -v[76:77]
	v_add_f64 v[100:101], v[40:41], v[76:77]
	v_add_f64 v[40:41], v[54:55], v[78:79]
	v_fma_f64 v[92:93], v[50:51], s[12:13], v[92:93]
	v_fma_f64 v[98:99], v[50:51], s[12:13], v[42:43]
	v_add_f64 v[102:103], v[60:61], -v[66:67]
	v_fma_f64 v[50:51], v[64:65], s[6:7], v[58:59]
	v_add_f64 v[104:105], v[54:55], -v[62:63]
	;; [unrolled: 2-line block ×3, first 2 shown]
	v_fma_f64 v[40:41], v[40:41], -0.5, v[46:47]
	v_add_f64 v[46:47], v[46:47], v[54:55]
	v_fma_f64 v[42:43], v[64:65], s[0:1], v[44:45]
	v_add_f64 v[52:53], v[60:61], -v[52:53]
	v_add_f64 v[60:61], v[66:67], -v[76:77]
	v_fma_f64 v[44:45], v[64:65], s[4:5], v[44:45]
	v_fma_f64 v[58:59], v[102:103], s[6:7], v[58:59]
	v_add_f64 v[64:65], v[104:105], v[106:107]
	v_fma_f64 v[66:67], v[102:103], s[4:5], v[40:41]
	v_add_f64 v[54:55], v[62:63], -v[54:55]
	v_add_f64 v[76:77], v[70:71], -v[78:79]
	v_fma_f64 v[40:41], v[102:103], s[0:1], v[40:41]
	v_add_f64 v[46:47], v[46:47], v[62:63]
	v_fma_f64 v[62:63], v[90:91], s[4:5], v[74:75]
	v_fma_f64 v[42:43], v[96:97], s[14:15], v[42:43]
	v_add_f64 v[52:53], v[52:53], v[60:61]
	v_fma_f64 v[44:45], v[96:97], s[6:7], v[44:45]
	v_fma_f64 v[58:59], v[64:65], s[12:13], v[58:59]
	;; [unrolled: 1-line block ×3, first 2 shown]
	v_add_f64 v[54:55], v[54:55], v[76:77]
	v_fma_f64 v[40:41], v[90:91], s[14:15], v[40:41]
	v_add_f64 v[46:47], v[46:47], v[70:71]
	v_fma_f64 v[62:63], v[102:103], s[14:15], v[62:63]
	v_fma_f64 v[48:49], v[56:57], s[12:13], v[48:49]
	;; [unrolled: 1-line block ×5, first 2 shown]
	v_mul_f64 v[44:45], v[58:59], s[14:15]
	v_fma_f64 v[56:57], v[54:55], s[12:13], v[60:61]
	v_fma_f64 v[54:55], v[54:55], s[12:13], v[40:41]
	v_add_f64 v[66:67], v[46:47], v[78:79]
	v_fma_f64 v[46:47], v[64:65], s[12:13], v[62:63]
	s_mov_b32 s16, 0x9b97f4a8
	s_mov_b32 s17, 0x3fe9e377
	v_mul_f64 v[58:59], v[58:59], s[16:17]
	v_fma_f64 v[62:63], v[48:49], s[16:17], v[44:45]
	v_mul_f64 v[44:45], v[56:57], s[4:5]
	v_mul_f64 v[60:61], v[54:55], s[4:5]
	s_mov_b32 s5, 0xbfd3c6ef
	s_mov_b32 s4, s12
	v_mul_f64 v[56:57], v[56:57], s[12:13]
	v_mul_f64 v[64:65], v[46:47], s[14:15]
	s_mov_b32 s15, 0xbfe9e377
	s_mov_b32 s14, s16
	v_mul_f64 v[54:55], v[54:55], s[4:5]
	v_mul_f64 v[46:47], v[46:47], s[14:15]
	v_fma_f64 v[78:79], v[48:49], s[6:7], v[58:59]
	v_fma_f64 v[70:71], v[42:43], s[12:13], v[44:45]
	v_fma_f64 v[90:91], v[42:43], s[0:1], v[56:57]
	v_fma_f64 v[74:75], v[52:53], s[4:5], v[60:61]
	v_fma_f64 v[76:77], v[50:51], s[14:15], v[64:65]
	v_add_f64 v[40:41], v[82:83], v[100:101]
	v_fma_f64 v[96:97], v[52:53], s[0:1], v[54:55]
	v_fma_f64 v[102:103], v[50:51], s[6:7], v[46:47]
	v_add_f64 v[42:43], v[86:87], v[66:67]
	v_add_f64 v[44:45], v[72:73], v[62:63]
	;; [unrolled: 1-line block ×9, first 2 shown]
	v_add_f64 v[60:61], v[82:83], -v[100:101]
	v_add_f64 v[64:65], v[72:73], -v[62:63]
	;; [unrolled: 1-line block ×10, first 2 shown]
	ds_write_b128 v165, v[40:43]
	ds_write_b128 v165, v[44:47] offset:960
	ds_write_b128 v165, v[48:51] offset:1920
	;; [unrolled: 1-line block ×9, first 2 shown]
	s_waitcnt lgkmcnt(0)
	; wave barrier
	s_waitcnt lgkmcnt(0)
	ds_read_b128 v[40:43], v165
	ds_read_b128 v[44:47], v165 offset:960
	v_mad_u64_u32 v[48:49], s[0:1], s10, v164, 0
	s_waitcnt lgkmcnt(1)
	v_mul_f64 v[50:51], v[38:39], v[42:43]
	v_mul_f64 v[38:39], v[38:39], v[40:41]
	v_mad_u64_u32 v[52:53], s[0:1], s11, v164, v[49:50]
	v_mad_u64_u32 v[53:54], s[0:1], s8, v166, 0
	v_fma_f64 v[40:41], v[36:37], v[40:41], v[50:51]
	v_fma_f64 v[38:39], v[36:37], v[42:43], -v[38:39]
	v_mov_b32_e32 v36, v54
	v_mad_u64_u32 v[42:43], s[0:1], s9, v166, v[36:37]
	s_mov_b32 s0, 0xb4e81b4f
	s_mov_b32 s1, 0x3f5b4e81
	v_mov_b32_e32 v54, v42
	s_waitcnt lgkmcnt(0)
	v_mul_f64 v[42:43], v[22:23], v[46:47]
	v_mul_f64 v[22:23], v[22:23], v[44:45]
	v_mov_b32_e32 v49, v52
	v_mul_f64 v[36:37], v[40:41], s[0:1]
	v_mul_f64 v[38:39], v[38:39], s[0:1]
	v_lshlrev_b64 v[40:41], 4, v[48:49]
	v_mov_b32_e32 v48, s3
	v_add_co_u32_e32 v49, vcc, s2, v40
	v_fma_f64 v[42:43], v[20:21], v[44:45], v[42:43]
	v_fma_f64 v[44:45], v[20:21], v[46:47], -v[22:23]
	ds_read_b128 v[20:23], v165 offset:1920
	v_addc_co_u32_e32 v48, vcc, v48, v41, vcc
	v_lshlrev_b64 v[40:41], 4, v[53:54]
	s_mul_i32 s2, s9, 0x3c0
	v_add_co_u32_e32 v46, vcc, v49, v40
	v_addc_co_u32_e32 v47, vcc, v48, v41, vcc
	global_store_dwordx4 v[46:47], v[36:39], off
	s_mul_hi_u32 s3, s8, 0x3c0
	v_mul_f64 v[36:37], v[42:43], s[0:1]
	ds_read_b128 v[40:43], v165 offset:2880
	s_waitcnt lgkmcnt(1)
	v_mul_f64 v[48:49], v[26:27], v[22:23]
	v_mul_f64 v[26:27], v[26:27], v[20:21]
	;; [unrolled: 1-line block ×3, first 2 shown]
	s_add_i32 s2, s3, s2
	s_waitcnt lgkmcnt(0)
	v_mul_f64 v[44:45], v[14:15], v[42:43]
	v_mul_f64 v[14:15], v[14:15], v[40:41]
	s_mul_i32 s3, s8, 0x3c0
	v_mov_b32_e32 v50, s2
	v_fma_f64 v[20:21], v[24:25], v[20:21], v[48:49]
	v_fma_f64 v[22:23], v[24:25], v[22:23], -v[26:27]
	v_add_co_u32_e32 v46, vcc, s3, v46
	v_addc_co_u32_e32 v47, vcc, v47, v50, vcc
	ds_read_b128 v[24:27], v165 offset:3840
	global_store_dwordx4 v[46:47], v[36:39], off
	v_mul_f64 v[20:21], v[20:21], s[0:1]
	v_mul_f64 v[22:23], v[22:23], s[0:1]
	v_fma_f64 v[36:37], v[12:13], v[40:41], v[44:45]
	v_fma_f64 v[38:39], v[12:13], v[42:43], -v[14:15]
	ds_read_b128 v[12:15], v165 offset:4800
	s_waitcnt lgkmcnt(1)
	v_mul_f64 v[40:41], v[6:7], v[26:27]
	v_mul_f64 v[6:7], v[6:7], v[24:25]
	v_mov_b32_e32 v48, s2
	v_add_co_u32_e32 v42, vcc, s3, v46
	v_addc_co_u32_e32 v43, vcc, v47, v48, vcc
	global_store_dwordx4 v[42:43], v[20:23], off
	v_fma_f64 v[24:25], v[4:5], v[24:25], v[40:41]
	v_mul_f64 v[20:21], v[36:37], s[0:1]
	v_mul_f64 v[22:23], v[38:39], s[0:1]
	v_fma_f64 v[6:7], v[4:5], v[26:27], -v[6:7]
	s_waitcnt lgkmcnt(0)
	v_mul_f64 v[26:27], v[30:31], v[14:15]
	v_mul_f64 v[30:31], v[30:31], v[12:13]
	v_mov_b32_e32 v37, s2
	v_add_co_u32_e32 v36, vcc, s3, v42
	v_addc_co_u32_e32 v37, vcc, v43, v37, vcc
	global_store_dwordx4 v[36:37], v[20:23], off
	ds_read_b128 v[20:23], v165 offset:5760
	v_mul_f64 v[4:5], v[24:25], s[0:1]
	v_mul_f64 v[6:7], v[6:7], s[0:1]
	v_fma_f64 v[24:25], v[28:29], v[12:13], v[26:27]
	v_fma_f64 v[26:27], v[28:29], v[14:15], -v[30:31]
	ds_read_b128 v[12:15], v165 offset:6720
	s_waitcnt lgkmcnt(1)
	v_mul_f64 v[28:29], v[10:11], v[22:23]
	v_mul_f64 v[10:11], v[10:11], v[20:21]
	v_mov_b32_e32 v38, s2
	v_add_co_u32_e32 v30, vcc, s3, v36
	v_addc_co_u32_e32 v31, vcc, v37, v38, vcc
	global_store_dwordx4 v[30:31], v[4:7], off
	v_fma_f64 v[20:21], v[8:9], v[20:21], v[28:29]
	v_mul_f64 v[4:5], v[24:25], s[0:1]
	v_mul_f64 v[6:7], v[26:27], s[0:1]
	v_fma_f64 v[8:9], v[8:9], v[22:23], -v[10:11]
	s_waitcnt lgkmcnt(0)
	v_mul_f64 v[10:11], v[34:35], v[14:15]
	v_mul_f64 v[22:23], v[34:35], v[12:13]
	v_mov_b32_e32 v25, s2
	v_add_co_u32_e32 v24, vcc, s3, v30
	v_addc_co_u32_e32 v25, vcc, v31, v25, vcc
	global_store_dwordx4 v[24:25], v[4:7], off
	v_mov_b32_e32 v26, s2
	v_mul_f64 v[4:5], v[20:21], s[0:1]
	v_mul_f64 v[6:7], v[8:9], s[0:1]
	v_fma_f64 v[20:21], v[32:33], v[12:13], v[10:11]
	v_fma_f64 v[22:23], v[32:33], v[14:15], -v[22:23]
	ds_read_b128 v[8:11], v165 offset:7680
	ds_read_b128 v[12:15], v165 offset:8640
	v_add_co_u32_e32 v24, vcc, s3, v24
	v_addc_co_u32_e32 v25, vcc, v25, v26, vcc
	s_waitcnt lgkmcnt(1)
	v_mul_f64 v[26:27], v[2:3], v[10:11]
	v_mul_f64 v[28:29], v[2:3], v[8:9]
	s_waitcnt lgkmcnt(0)
	v_mul_f64 v[30:31], v[18:19], v[14:15]
	v_mul_f64 v[18:19], v[18:19], v[12:13]
	global_store_dwordx4 v[24:25], v[4:7], off
	v_mul_f64 v[2:3], v[20:21], s[0:1]
	v_mul_f64 v[4:5], v[22:23], s[0:1]
	v_mov_b32_e32 v20, s2
	v_fma_f64 v[6:7], v[0:1], v[8:9], v[26:27]
	v_fma_f64 v[8:9], v[0:1], v[10:11], -v[28:29]
	v_fma_f64 v[10:11], v[16:17], v[12:13], v[30:31]
	v_fma_f64 v[12:13], v[16:17], v[14:15], -v[18:19]
	v_add_co_u32_e32 v14, vcc, s3, v24
	v_addc_co_u32_e32 v15, vcc, v25, v20, vcc
	global_store_dwordx4 v[14:15], v[2:5], off
	v_mul_f64 v[0:1], v[6:7], s[0:1]
	v_mul_f64 v[2:3], v[8:9], s[0:1]
	;; [unrolled: 1-line block ×4, first 2 shown]
	v_mov_b32_e32 v9, s2
	v_add_co_u32_e32 v8, vcc, s3, v14
	v_addc_co_u32_e32 v9, vcc, v15, v9, vcc
	global_store_dwordx4 v[8:9], v[0:3], off
	s_nop 0
	v_mov_b32_e32 v1, s2
	v_add_co_u32_e32 v0, vcc, s3, v8
	v_addc_co_u32_e32 v1, vcc, v9, v1, vcc
	global_store_dwordx4 v[0:1], v[4:7], off
.LBB0_10:
	s_endpgm
	.section	.rodata,"a",@progbits
	.p2align	6, 0x0
	.amdhsa_kernel bluestein_single_back_len600_dim1_dp_op_CI_CI
		.amdhsa_group_segment_fixed_size 9600
		.amdhsa_private_segment_fixed_size 0
		.amdhsa_kernarg_size 104
		.amdhsa_user_sgpr_count 6
		.amdhsa_user_sgpr_private_segment_buffer 1
		.amdhsa_user_sgpr_dispatch_ptr 0
		.amdhsa_user_sgpr_queue_ptr 0
		.amdhsa_user_sgpr_kernarg_segment_ptr 1
		.amdhsa_user_sgpr_dispatch_id 0
		.amdhsa_user_sgpr_flat_scratch_init 0
		.amdhsa_user_sgpr_private_segment_size 0
		.amdhsa_uses_dynamic_stack 0
		.amdhsa_system_sgpr_private_segment_wavefront_offset 0
		.amdhsa_system_sgpr_workgroup_id_x 1
		.amdhsa_system_sgpr_workgroup_id_y 0
		.amdhsa_system_sgpr_workgroup_id_z 0
		.amdhsa_system_sgpr_workgroup_info 0
		.amdhsa_system_vgpr_workitem_id 0
		.amdhsa_next_free_vgpr 218
		.amdhsa_next_free_sgpr 25
		.amdhsa_reserve_vcc 1
		.amdhsa_reserve_flat_scratch 0
		.amdhsa_float_round_mode_32 0
		.amdhsa_float_round_mode_16_64 0
		.amdhsa_float_denorm_mode_32 3
		.amdhsa_float_denorm_mode_16_64 3
		.amdhsa_dx10_clamp 1
		.amdhsa_ieee_mode 1
		.amdhsa_fp16_overflow 0
		.amdhsa_exception_fp_ieee_invalid_op 0
		.amdhsa_exception_fp_denorm_src 0
		.amdhsa_exception_fp_ieee_div_zero 0
		.amdhsa_exception_fp_ieee_overflow 0
		.amdhsa_exception_fp_ieee_underflow 0
		.amdhsa_exception_fp_ieee_inexact 0
		.amdhsa_exception_int_div_zero 0
	.end_amdhsa_kernel
	.text
.Lfunc_end0:
	.size	bluestein_single_back_len600_dim1_dp_op_CI_CI, .Lfunc_end0-bluestein_single_back_len600_dim1_dp_op_CI_CI
                                        ; -- End function
	.section	.AMDGPU.csdata,"",@progbits
; Kernel info:
; codeLenInByte = 12008
; NumSgprs: 29
; NumVgprs: 218
; ScratchSize: 0
; MemoryBound: 0
; FloatMode: 240
; IeeeMode: 1
; LDSByteSize: 9600 bytes/workgroup (compile time only)
; SGPRBlocks: 3
; VGPRBlocks: 54
; NumSGPRsForWavesPerEU: 29
; NumVGPRsForWavesPerEU: 218
; Occupancy: 1
; WaveLimiterHint : 1
; COMPUTE_PGM_RSRC2:SCRATCH_EN: 0
; COMPUTE_PGM_RSRC2:USER_SGPR: 6
; COMPUTE_PGM_RSRC2:TRAP_HANDLER: 0
; COMPUTE_PGM_RSRC2:TGID_X_EN: 1
; COMPUTE_PGM_RSRC2:TGID_Y_EN: 0
; COMPUTE_PGM_RSRC2:TGID_Z_EN: 0
; COMPUTE_PGM_RSRC2:TIDIG_COMP_CNT: 0
	.type	__hip_cuid_95b887a39042d474,@object ; @__hip_cuid_95b887a39042d474
	.section	.bss,"aw",@nobits
	.globl	__hip_cuid_95b887a39042d474
__hip_cuid_95b887a39042d474:
	.byte	0                               ; 0x0
	.size	__hip_cuid_95b887a39042d474, 1

	.ident	"AMD clang version 19.0.0git (https://github.com/RadeonOpenCompute/llvm-project roc-6.4.0 25133 c7fe45cf4b819c5991fe208aaa96edf142730f1d)"
	.section	".note.GNU-stack","",@progbits
	.addrsig
	.addrsig_sym __hip_cuid_95b887a39042d474
	.amdgpu_metadata
---
amdhsa.kernels:
  - .args:
      - .actual_access:  read_only
        .address_space:  global
        .offset:         0
        .size:           8
        .value_kind:     global_buffer
      - .actual_access:  read_only
        .address_space:  global
        .offset:         8
        .size:           8
        .value_kind:     global_buffer
      - .actual_access:  read_only
        .address_space:  global
        .offset:         16
        .size:           8
        .value_kind:     global_buffer
      - .actual_access:  read_only
        .address_space:  global
        .offset:         24
        .size:           8
        .value_kind:     global_buffer
      - .actual_access:  read_only
        .address_space:  global
        .offset:         32
        .size:           8
        .value_kind:     global_buffer
      - .offset:         40
        .size:           8
        .value_kind:     by_value
      - .address_space:  global
        .offset:         48
        .size:           8
        .value_kind:     global_buffer
      - .address_space:  global
        .offset:         56
        .size:           8
        .value_kind:     global_buffer
      - .address_space:  global
        .offset:         64
        .size:           8
        .value_kind:     global_buffer
      - .address_space:  global
        .offset:         72
        .size:           8
        .value_kind:     global_buffer
      - .offset:         80
        .size:           4
        .value_kind:     by_value
      - .address_space:  global
        .offset:         88
        .size:           8
        .value_kind:     global_buffer
      - .address_space:  global
        .offset:         96
        .size:           8
        .value_kind:     global_buffer
    .group_segment_fixed_size: 9600
    .kernarg_segment_align: 8
    .kernarg_segment_size: 104
    .language:       OpenCL C
    .language_version:
      - 2
      - 0
    .max_flat_workgroup_size: 60
    .name:           bluestein_single_back_len600_dim1_dp_op_CI_CI
    .private_segment_fixed_size: 0
    .sgpr_count:     29
    .sgpr_spill_count: 0
    .symbol:         bluestein_single_back_len600_dim1_dp_op_CI_CI.kd
    .uniform_work_group_size: 1
    .uses_dynamic_stack: false
    .vgpr_count:     218
    .vgpr_spill_count: 0
    .wavefront_size: 64
amdhsa.target:   amdgcn-amd-amdhsa--gfx906
amdhsa.version:
  - 1
  - 2
...

	.end_amdgpu_metadata
